;; amdgpu-corpus repo=ROCm/rocFFT kind=compiled arch=gfx1030 opt=O3
	.text
	.amdgcn_target "amdgcn-amd-amdhsa--gfx1030"
	.amdhsa_code_object_version 6
	.protected	fft_rtc_back_len120_factors_6_10_2_wgs_60_tpt_12_halfLds_dp_ip_CI_unitstride_sbrr_R2C_dirReg ; -- Begin function fft_rtc_back_len120_factors_6_10_2_wgs_60_tpt_12_halfLds_dp_ip_CI_unitstride_sbrr_R2C_dirReg
	.globl	fft_rtc_back_len120_factors_6_10_2_wgs_60_tpt_12_halfLds_dp_ip_CI_unitstride_sbrr_R2C_dirReg
	.p2align	8
	.type	fft_rtc_back_len120_factors_6_10_2_wgs_60_tpt_12_halfLds_dp_ip_CI_unitstride_sbrr_R2C_dirReg,@function
fft_rtc_back_len120_factors_6_10_2_wgs_60_tpt_12_halfLds_dp_ip_CI_unitstride_sbrr_R2C_dirReg: ; @fft_rtc_back_len120_factors_6_10_2_wgs_60_tpt_12_halfLds_dp_ip_CI_unitstride_sbrr_R2C_dirReg
; %bb.0:
	s_load_dwordx4 s[8:11], s[4:5], 0x0
	v_mul_u32_u24_e32 v1, 0x1556, v0
	s_clause 0x1
	s_load_dwordx2 s[2:3], s[4:5], 0x50
	s_load_dwordx2 s[12:13], s[4:5], 0x18
	v_mov_b32_e32 v5, 0
	v_mov_b32_e32 v3, 0
	;; [unrolled: 1-line block ×3, first 2 shown]
	v_lshrrev_b32_e32 v1, 16, v1
	v_mad_u64_u32 v[1:2], null, s6, 5, v[1:2]
	v_mov_b32_e32 v2, v5
	v_mov_b32_e32 v10, v2
	;; [unrolled: 1-line block ×3, first 2 shown]
	s_waitcnt lgkmcnt(0)
	v_cmp_lt_u64_e64 s0, s[10:11], 2
	s_and_b32 vcc_lo, exec_lo, s0
	s_cbranch_vccnz .LBB0_8
; %bb.1:
	s_load_dwordx2 s[0:1], s[4:5], 0x10
	v_mov_b32_e32 v3, 0
	v_mov_b32_e32 v8, v2
	s_add_u32 s6, s12, 8
	v_mov_b32_e32 v4, 0
	v_mov_b32_e32 v7, v1
	s_addc_u32 s7, s13, 0
	s_mov_b64 s[16:17], 1
	s_waitcnt lgkmcnt(0)
	s_add_u32 s14, s0, 8
	s_addc_u32 s15, s1, 0
.LBB0_2:                                ; =>This Inner Loop Header: Depth=1
	s_load_dwordx2 s[18:19], s[14:15], 0x0
                                        ; implicit-def: $vgpr9_vgpr10
	s_mov_b32 s0, exec_lo
	s_waitcnt lgkmcnt(0)
	v_or_b32_e32 v6, s19, v8
	v_cmpx_ne_u64_e32 0, v[5:6]
	s_xor_b32 s1, exec_lo, s0
	s_cbranch_execz .LBB0_4
; %bb.3:                                ;   in Loop: Header=BB0_2 Depth=1
	v_cvt_f32_u32_e32 v2, s18
	v_cvt_f32_u32_e32 v6, s19
	s_sub_u32 s0, 0, s18
	s_subb_u32 s20, 0, s19
	v_fmac_f32_e32 v2, 0x4f800000, v6
	v_rcp_f32_e32 v2, v2
	v_mul_f32_e32 v2, 0x5f7ffffc, v2
	v_mul_f32_e32 v6, 0x2f800000, v2
	v_trunc_f32_e32 v6, v6
	v_fmac_f32_e32 v2, 0xcf800000, v6
	v_cvt_u32_f32_e32 v6, v6
	v_cvt_u32_f32_e32 v2, v2
	v_mul_lo_u32 v9, s0, v6
	v_mul_hi_u32 v10, s0, v2
	v_mul_lo_u32 v11, s20, v2
	v_add_nc_u32_e32 v9, v10, v9
	v_mul_lo_u32 v10, s0, v2
	v_add_nc_u32_e32 v9, v9, v11
	v_mul_hi_u32 v11, v2, v10
	v_mul_lo_u32 v12, v2, v9
	v_mul_hi_u32 v13, v2, v9
	v_mul_hi_u32 v14, v6, v10
	v_mul_lo_u32 v10, v6, v10
	v_mul_hi_u32 v15, v6, v9
	v_mul_lo_u32 v9, v6, v9
	v_add_co_u32 v11, vcc_lo, v11, v12
	v_add_co_ci_u32_e32 v12, vcc_lo, 0, v13, vcc_lo
	v_add_co_u32 v10, vcc_lo, v11, v10
	v_add_co_ci_u32_e32 v10, vcc_lo, v12, v14, vcc_lo
	v_add_co_ci_u32_e32 v11, vcc_lo, 0, v15, vcc_lo
	v_add_co_u32 v9, vcc_lo, v10, v9
	v_add_co_ci_u32_e32 v10, vcc_lo, 0, v11, vcc_lo
	v_add_co_u32 v2, vcc_lo, v2, v9
	v_add_co_ci_u32_e32 v6, vcc_lo, v6, v10, vcc_lo
	v_mul_hi_u32 v9, s0, v2
	v_mul_lo_u32 v11, s20, v2
	v_mul_lo_u32 v10, s0, v6
	v_add_nc_u32_e32 v9, v9, v10
	v_mul_lo_u32 v10, s0, v2
	v_add_nc_u32_e32 v9, v9, v11
	v_mul_hi_u32 v11, v2, v10
	v_mul_lo_u32 v12, v2, v9
	v_mul_hi_u32 v13, v2, v9
	v_mul_hi_u32 v14, v6, v10
	v_mul_lo_u32 v10, v6, v10
	v_mul_hi_u32 v15, v6, v9
	v_mul_lo_u32 v9, v6, v9
	v_add_co_u32 v11, vcc_lo, v11, v12
	v_add_co_ci_u32_e32 v12, vcc_lo, 0, v13, vcc_lo
	v_add_co_u32 v10, vcc_lo, v11, v10
	v_add_co_ci_u32_e32 v10, vcc_lo, v12, v14, vcc_lo
	v_add_co_ci_u32_e32 v11, vcc_lo, 0, v15, vcc_lo
	v_add_co_u32 v9, vcc_lo, v10, v9
	v_add_co_ci_u32_e32 v10, vcc_lo, 0, v11, vcc_lo
	v_add_co_u32 v2, vcc_lo, v2, v9
	v_add_co_ci_u32_e32 v6, vcc_lo, v6, v10, vcc_lo
	v_mul_hi_u32 v15, v7, v2
	v_mad_u64_u32 v[11:12], null, v8, v2, 0
	v_mad_u64_u32 v[9:10], null, v7, v6, 0
	v_mad_u64_u32 v[13:14], null, v8, v6, 0
	v_add_co_u32 v2, vcc_lo, v15, v9
	v_add_co_ci_u32_e32 v6, vcc_lo, 0, v10, vcc_lo
	v_add_co_u32 v2, vcc_lo, v2, v11
	v_add_co_ci_u32_e32 v2, vcc_lo, v6, v12, vcc_lo
	v_add_co_ci_u32_e32 v6, vcc_lo, 0, v14, vcc_lo
	v_add_co_u32 v2, vcc_lo, v2, v13
	v_add_co_ci_u32_e32 v6, vcc_lo, 0, v6, vcc_lo
	v_mul_lo_u32 v11, s19, v2
	v_mad_u64_u32 v[9:10], null, s18, v2, 0
	v_mul_lo_u32 v12, s18, v6
	v_sub_co_u32 v9, vcc_lo, v7, v9
	v_add3_u32 v10, v10, v12, v11
	v_sub_nc_u32_e32 v11, v8, v10
	v_subrev_co_ci_u32_e64 v11, s0, s19, v11, vcc_lo
	v_add_co_u32 v12, s0, v2, 2
	v_add_co_ci_u32_e64 v13, s0, 0, v6, s0
	v_sub_co_u32 v14, s0, v9, s18
	v_sub_co_ci_u32_e32 v10, vcc_lo, v8, v10, vcc_lo
	v_subrev_co_ci_u32_e64 v11, s0, 0, v11, s0
	v_cmp_le_u32_e32 vcc_lo, s18, v14
	v_cmp_eq_u32_e64 s0, s19, v10
	v_cndmask_b32_e64 v14, 0, -1, vcc_lo
	v_cmp_le_u32_e32 vcc_lo, s19, v11
	v_cndmask_b32_e64 v15, 0, -1, vcc_lo
	v_cmp_le_u32_e32 vcc_lo, s18, v9
	;; [unrolled: 2-line block ×3, first 2 shown]
	v_cndmask_b32_e64 v16, 0, -1, vcc_lo
	v_cmp_eq_u32_e32 vcc_lo, s19, v11
	v_cndmask_b32_e64 v9, v16, v9, s0
	v_cndmask_b32_e32 v11, v15, v14, vcc_lo
	v_add_co_u32 v14, vcc_lo, v2, 1
	v_add_co_ci_u32_e32 v15, vcc_lo, 0, v6, vcc_lo
	v_cmp_ne_u32_e32 vcc_lo, 0, v11
	v_cndmask_b32_e32 v10, v15, v13, vcc_lo
	v_cndmask_b32_e32 v11, v14, v12, vcc_lo
	v_cmp_ne_u32_e32 vcc_lo, 0, v9
	v_cndmask_b32_e32 v10, v6, v10, vcc_lo
	v_cndmask_b32_e32 v9, v2, v11, vcc_lo
.LBB0_4:                                ;   in Loop: Header=BB0_2 Depth=1
	s_andn2_saveexec_b32 s0, s1
	s_cbranch_execz .LBB0_6
; %bb.5:                                ;   in Loop: Header=BB0_2 Depth=1
	v_cvt_f32_u32_e32 v2, s18
	s_sub_i32 s1, 0, s18
	v_rcp_iflag_f32_e32 v2, v2
	v_mul_f32_e32 v2, 0x4f7ffffe, v2
	v_cvt_u32_f32_e32 v2, v2
	v_mul_lo_u32 v6, s1, v2
	v_mul_hi_u32 v6, v2, v6
	v_add_nc_u32_e32 v2, v2, v6
	v_mul_hi_u32 v2, v7, v2
	v_mul_lo_u32 v6, v2, s18
	v_add_nc_u32_e32 v9, 1, v2
	v_sub_nc_u32_e32 v6, v7, v6
	v_subrev_nc_u32_e32 v10, s18, v6
	v_cmp_le_u32_e32 vcc_lo, s18, v6
	v_cndmask_b32_e32 v6, v6, v10, vcc_lo
	v_cndmask_b32_e32 v2, v2, v9, vcc_lo
	v_mov_b32_e32 v10, v5
	v_cmp_le_u32_e32 vcc_lo, s18, v6
	v_add_nc_u32_e32 v9, 1, v2
	v_cndmask_b32_e32 v9, v2, v9, vcc_lo
.LBB0_6:                                ;   in Loop: Header=BB0_2 Depth=1
	s_or_b32 exec_lo, exec_lo, s0
	s_load_dwordx2 s[0:1], s[6:7], 0x0
	v_mul_lo_u32 v2, v10, s18
	v_mul_lo_u32 v6, v9, s19
	v_mad_u64_u32 v[11:12], null, v9, s18, 0
	s_add_u32 s16, s16, 1
	s_addc_u32 s17, s17, 0
	s_add_u32 s6, s6, 8
	s_addc_u32 s7, s7, 0
	;; [unrolled: 2-line block ×3, first 2 shown]
	v_add3_u32 v2, v12, v6, v2
	v_sub_co_u32 v6, vcc_lo, v7, v11
	v_sub_co_ci_u32_e32 v2, vcc_lo, v8, v2, vcc_lo
	s_waitcnt lgkmcnt(0)
	v_mul_lo_u32 v7, s1, v6
	v_mul_lo_u32 v2, s0, v2
	v_mad_u64_u32 v[3:4], null, s0, v6, v[3:4]
	v_cmp_ge_u64_e64 s0, s[16:17], s[10:11]
	s_and_b32 vcc_lo, exec_lo, s0
	v_add3_u32 v4, v7, v4, v2
	s_cbranch_vccnz .LBB0_8
; %bb.7:                                ;   in Loop: Header=BB0_2 Depth=1
	v_mov_b32_e32 v7, v9
	v_mov_b32_e32 v8, v10
	s_branch .LBB0_2
.LBB0_8:
	s_lshl_b64 s[0:1], s[10:11], 3
	v_mul_hi_u32 v2, 0xcccccccd, v1
	s_add_u32 s0, s12, s0
	s_addc_u32 s1, s13, s1
	v_mul_hi_u32 v5, 0x15555556, v0
	s_load_dwordx2 s[0:1], s[0:1], 0x0
	s_load_dwordx2 s[4:5], s[4:5], 0x20
	v_lshrrev_b32_e32 v6, 2, v2
	v_mul_u32_u24_e32 v5, 12, v5
	v_sub_nc_u32_e32 v24, v0, v5
	v_add_nc_u32_e32 v28, 12, v24
	s_waitcnt lgkmcnt(0)
	v_mul_lo_u32 v7, s0, v10
	v_mul_lo_u32 v8, s1, v9
	v_mad_u64_u32 v[2:3], null, s0, v9, v[3:4]
	v_lshl_add_u32 v4, v6, 2, v6
	v_cmp_gt_u64_e32 vcc_lo, s[4:5], v[9:10]
	v_cmp_le_u64_e64 s0, s[4:5], v[9:10]
	v_sub_nc_u32_e32 v0, v1, v4
	v_add3_u32 v3, v8, v3, v7
	s_and_saveexec_b32 s1, s0
	s_xor_b32 s0, exec_lo, s1
; %bb.9:
	v_add_nc_u32_e32 v28, 12, v24
; %bb.10:
	s_or_saveexec_b32 s1, s0
	v_mul_u32_u24_e32 v0, 0x79, v0
	v_lshlrev_b64 v[26:27], 4, v[2:3]
	v_lshlrev_b32_e32 v31, 4, v24
	v_lshlrev_b32_e32 v34, 4, v0
	s_xor_b32 exec_lo, exec_lo, s1
	s_cbranch_execz .LBB0_12
; %bb.11:
	v_mov_b32_e32 v25, 0
	v_add_co_u32 v2, s0, s2, v26
	v_add_co_ci_u32_e64 v3, s0, s3, v27, s0
	v_lshlrev_b64 v[0:1], 4, v[24:25]
	v_add3_u32 v25, 0, v34, v31
	v_add_co_u32 v29, s0, v2, v0
	v_add_co_ci_u32_e64 v30, s0, v3, v1, s0
	s_clause 0x9
	global_load_dwordx4 v[0:3], v[29:30], off
	global_load_dwordx4 v[4:7], v[29:30], off offset:192
	global_load_dwordx4 v[8:11], v[29:30], off offset:384
	;; [unrolled: 1-line block ×9, first 2 shown]
	s_waitcnt vmcnt(9)
	ds_write_b128 v25, v[0:3]
	s_waitcnt vmcnt(8)
	ds_write_b128 v25, v[4:7] offset:192
	s_waitcnt vmcnt(7)
	ds_write_b128 v25, v[8:11] offset:384
	;; [unrolled: 2-line block ×9, first 2 shown]
.LBB0_12:
	s_or_b32 exec_lo, exec_lo, s1
	v_add_nc_u32_e32 v0, 0, v31
	s_waitcnt lgkmcnt(0)
	s_barrier
	buffer_gl0_inv
	v_add_nc_u32_e32 v32, 0, v34
	v_add_nc_u32_e32 v33, v0, v34
	s_mov_b32 s4, 0xe8584caa
	s_mov_b32 s5, 0xbfebb67a
	;; [unrolled: 1-line block ×3, first 2 shown]
	v_add_nc_u32_e32 v30, v32, v31
	ds_read_b128 v[35:38], v33 offset:1600
	ds_read_b128 v[39:42], v33 offset:960
	;; [unrolled: 1-line block ×8, first 2 shown]
	s_mov_b32 s6, s4
	v_mad_u32_u24 v25, 0x50, v24, v33
	s_mov_b32 s1, exec_lo
	s_waitcnt lgkmcnt(6)
	v_add_f64 v[12:13], v[41:42], v[37:38]
	v_add_f64 v[16:17], v[39:40], v[35:36]
	v_add_f64 v[18:19], v[39:40], -v[35:36]
	v_add_f64 v[65:66], v[41:42], -v[37:38]
	s_waitcnt lgkmcnt(0)
	v_add_f64 v[61:62], v[51:52], v[47:48]
	v_add_f64 v[63:64], v[53:54], v[49:50]
	v_add_f64 v[39:40], v[43:44], v[39:40]
	v_add_f64 v[41:42], v[45:46], v[41:42]
	v_fma_f64 v[59:60], v[12:13], -0.5, v[45:46]
	v_fma_f64 v[67:68], v[16:17], -0.5, v[43:44]
	ds_read_b128 v[55:58], v30
	ds_read_b128 v[20:23], v33 offset:832
	ds_read_b128 v[12:15], v33 offset:1472
	v_add_f64 v[39:40], v[39:40], v[35:36]
	v_add_f64 v[41:42], v[41:42], v[37:38]
	s_waitcnt lgkmcnt(2)
	v_add_f64 v[71:72], v[55:56], v[51:52]
	v_add_f64 v[73:74], v[57:58], v[53:54]
	v_fma_f64 v[69:70], v[18:19], s[6:7], v[59:60]
	v_fma_f64 v[59:60], v[18:19], s[4:5], v[59:60]
	v_add_f64 v[53:54], v[53:54], -v[49:50]
	v_add_f64 v[51:52], v[51:52], -v[47:48]
	v_fma_f64 v[43:44], v[61:62], -0.5, v[55:56]
	v_fma_f64 v[45:46], v[63:64], -0.5, v[57:58]
	v_fma_f64 v[55:56], v[65:66], s[4:5], v[67:68]
	v_fma_f64 v[63:64], v[65:66], s[6:7], v[67:68]
	ds_read_b128 v[16:19], v33 offset:192
	s_waitcnt lgkmcnt(0)
	s_barrier
	buffer_gl0_inv
	v_add_f64 v[47:48], v[71:72], v[47:48]
	v_add_f64 v[49:50], v[73:74], v[49:50]
	v_mul_f64 v[57:58], v[69:70], s[4:5]
	v_mul_f64 v[61:62], v[69:70], 0.5
	v_mul_f64 v[65:66], v[59:60], s[4:5]
	v_mul_f64 v[59:60], v[59:60], -0.5
	v_fma_f64 v[67:68], v[53:54], s[4:5], v[43:44]
	v_fma_f64 v[69:70], v[51:52], s[6:7], v[45:46]
	;; [unrolled: 1-line block ×3, first 2 shown]
	v_add_f64 v[35:36], v[47:48], v[39:40]
	v_add_f64 v[37:38], v[49:50], v[41:42]
	v_fma_f64 v[57:58], v[55:56], 0.5, v[57:58]
	v_fma_f64 v[55:56], v[55:56], s[6:7], v[61:62]
	v_fma_f64 v[61:62], v[53:54], s[6:7], v[43:44]
	v_fma_f64 v[65:66], v[63:64], -0.5, v[65:66]
	v_fma_f64 v[59:60], v[63:64], s[6:7], v[59:60]
	v_add_f64 v[39:40], v[47:48], -v[39:40]
	v_add_f64 v[41:42], v[49:50], -v[41:42]
	v_add_f64 v[43:44], v[67:68], v[57:58]
	v_add_f64 v[45:46], v[69:70], v[55:56]
	v_add_f64 v[47:48], v[67:68], -v[57:58]
	v_add_f64 v[51:52], v[61:62], v[65:66]
	v_add_f64 v[53:54], v[71:72], v[59:60]
	v_add_f64 v[49:50], v[69:70], -v[55:56]
	v_add_f64 v[55:56], v[61:62], -v[65:66]
	;; [unrolled: 1-line block ×3, first 2 shown]
	ds_write_b128 v25, v[35:38]
	ds_write_b128 v25, v[39:42] offset:48
	ds_write_b128 v25, v[43:46] offset:16
	;; [unrolled: 1-line block ×5, first 2 shown]
	v_cmpx_gt_u32_e32 8, v24
	s_cbranch_execz .LBB0_14
; %bb.13:
	v_add_f64 v[35:36], v[2:3], v[6:7]
	v_add_f64 v[37:38], v[0:1], v[4:5]
	v_add_f64 v[39:40], v[0:1], -v[4:5]
	v_add_f64 v[41:42], v[22:23], v[14:15]
	v_add_f64 v[43:44], v[2:3], -v[6:7]
	v_add_f64 v[47:48], v[20:21], -v[12:13]
	v_add_f64 v[49:50], v[18:19], v[22:23]
	v_add_f64 v[2:3], v[10:11], v[2:3]
	v_add_f64 v[0:1], v[8:9], v[0:1]
	v_mul_i32_i24_e32 v25, 6, v28
	v_lshlrev_b32_e32 v25, 4, v25
	v_add3_u32 v25, 0, v25, v34
	v_fma_f64 v[35:36], v[35:36], -0.5, v[10:11]
	v_fma_f64 v[37:38], v[37:38], -0.5, v[8:9]
	v_add_f64 v[10:11], v[22:23], -v[14:15]
	v_fma_f64 v[8:9], v[41:42], -0.5, v[18:19]
	v_add_f64 v[14:15], v[49:50], v[14:15]
	v_add_f64 v[6:7], v[2:3], v[6:7]
	;; [unrolled: 1-line block ×3, first 2 shown]
	v_fma_f64 v[45:46], v[39:40], s[4:5], v[35:36]
	v_fma_f64 v[35:36], v[39:40], s[6:7], v[35:36]
	v_add_f64 v[39:40], v[20:21], v[12:13]
	v_add_f64 v[20:21], v[16:17], v[20:21]
	v_fma_f64 v[18:19], v[43:44], s[6:7], v[37:38]
	v_fma_f64 v[22:23], v[43:44], s[4:5], v[37:38]
	v_add_f64 v[2:3], v[14:15], -v[6:7]
	v_add_f64 v[6:7], v[14:15], v[6:7]
	v_mul_f64 v[37:38], v[45:46], -0.5
	v_mul_f64 v[41:42], v[35:36], 0.5
	v_fma_f64 v[16:17], v[39:40], -0.5, v[16:17]
	v_mul_f64 v[35:36], v[35:36], s[4:5]
	v_mul_f64 v[39:40], v[45:46], s[4:5]
	v_add_f64 v[12:13], v[20:21], v[12:13]
	v_fma_f64 v[20:21], v[47:48], s[4:5], v[8:9]
	v_fma_f64 v[8:9], v[47:48], s[6:7], v[8:9]
	;; [unrolled: 1-line block ×5, first 2 shown]
	v_fma_f64 v[35:36], v[22:23], 0.5, v[35:36]
	v_fma_f64 v[43:44], v[10:11], s[6:7], v[16:17]
	v_fma_f64 v[39:40], v[18:19], -0.5, v[39:40]
	v_add_f64 v[0:1], v[12:13], -v[4:5]
	v_add_f64 v[4:5], v[12:13], v[4:5]
	v_add_f64 v[10:11], v[20:21], -v[37:38]
	v_add_f64 v[18:19], v[20:21], v[37:38]
	v_add_f64 v[22:23], v[8:9], v[41:42]
	v_add_f64 v[20:21], v[45:46], v[35:36]
	v_add_f64 v[14:15], v[8:9], -v[41:42]
	v_add_f64 v[16:17], v[43:44], v[39:40]
	v_add_f64 v[12:13], v[45:46], -v[35:36]
	v_add_f64 v[8:9], v[43:44], -v[39:40]
	ds_write_b128 v25, v[4:7]
	ds_write_b128 v25, v[0:3] offset:48
	ds_write_b128 v25, v[20:23] offset:16
	;; [unrolled: 1-line block ×5, first 2 shown]
.LBB0_14:
	s_or_b32 exec_lo, exec_lo, s1
	v_add_nc_u32_e32 v0, -6, v24
	v_cmp_gt_u32_e64 s0, 6, v24
	v_mov_b32_e32 v1, 0
	s_waitcnt lgkmcnt(0)
	s_barrier
	buffer_gl0_inv
	v_cndmask_b32_e64 v2, v0, v24, s0
	s_mov_b32 s16, 0x134454ff
	s_mov_b32 s17, 0xbfee6f0e
	;; [unrolled: 1-line block ×4, first 2 shown]
	v_mul_i32_i24_e32 v0, 9, v2
	s_mov_b32 s19, 0xbfe2cf23
	s_mov_b32 s5, 0x3fe2cf23
	;; [unrolled: 1-line block ×4, first 2 shown]
	v_lshlrev_b64 v[3:4], 4, v[0:1]
	v_lshlrev_b32_e32 v0, 4, v28
	s_mov_b32 s7, 0x3fd3c6ef
	s_mov_b32 s14, 0x9b97f4a8
	;; [unrolled: 1-line block ×4, first 2 shown]
	v_add_co_u32 v47, s0, s8, v3
	v_add_co_ci_u32_e64 v48, s0, s9, v4, s0
	v_add3_u32 v0, 0, v0, v34
	s_mov_b32 s0, s16
	s_clause 0x8
	global_load_dwordx4 v[3:6], v[47:48], off offset:16
	global_load_dwordx4 v[7:10], v[47:48], off offset:32
	;; [unrolled: 1-line block ×8, first 2 shown]
	global_load_dwordx4 v[47:50], v[47:48], off
	ds_read_b128 v[51:54], v33 offset:384
	ds_read_b128 v[55:58], v33 offset:576
	;; [unrolled: 1-line block ×6, first 2 shown]
	ds_read_b128 v[75:78], v30
	ds_read_b128 v[79:82], v33 offset:1152
	ds_read_b128 v[83:86], v33 offset:1536
	ds_read_b128 v[87:90], v0
	s_mov_b32 s10, s6
	s_mov_b32 s13, 0xbfe9e377
	;; [unrolled: 1-line block ×3, first 2 shown]
	v_mov_b32_e32 v25, v1
	v_mov_b32_e32 v29, v1
	v_lshlrev_b32_e32 v2, 4, v2
	s_waitcnt vmcnt(0) lgkmcnt(0)
	s_barrier
	buffer_gl0_inv
	v_mul_f64 v[91:92], v[53:54], v[5:6]
	v_mul_f64 v[5:6], v[51:52], v[5:6]
	;; [unrolled: 1-line block ×9, first 2 shown]
	v_fma_f64 v[51:52], v[51:52], v[3:4], v[91:92]
	v_fma_f64 v[3:4], v[53:54], v[3:4], -v[5:6]
	v_mul_f64 v[5:6], v[81:82], v[41:42]
	v_mul_f64 v[41:42], v[79:80], v[41:42]
	;; [unrolled: 1-line block ×4, first 2 shown]
	v_fma_f64 v[55:56], v[55:56], v[7:8], v[93:94]
	v_fma_f64 v[7:8], v[57:58], v[7:8], -v[9:10]
	v_mul_f64 v[9:10], v[61:62], v[13:14]
	v_mul_f64 v[13:14], v[65:66], v[17:18]
	;; [unrolled: 1-line block ×4, first 2 shown]
	v_fma_f64 v[57:58], v[61:62], v[11:12], -v[95:96]
	v_fma_f64 v[61:62], v[65:66], v[15:16], -v[97:98]
	;; [unrolled: 1-line block ×3, first 2 shown]
	v_fma_f64 v[69:70], v[71:72], v[35:36], v[101:102]
	v_fma_f64 v[35:36], v[73:74], v[35:36], -v[37:38]
	v_mul_f64 v[37:38], v[89:90], v[49:50]
	v_fma_f64 v[5:6], v[79:80], v[39:40], v[5:6]
	v_fma_f64 v[39:40], v[81:82], v[39:40], -v[41:42]
	v_fma_f64 v[49:50], v[83:84], v[43:44], v[53:54]
	v_fma_f64 v[41:42], v[85:86], v[43:44], -v[45:46]
	v_add_f64 v[85:86], v[75:76], v[51:52]
	v_fma_f64 v[9:10], v[59:60], v[11:12], v[9:10]
	v_fma_f64 v[11:12], v[63:64], v[15:16], v[13:14]
	;; [unrolled: 1-line block ×3, first 2 shown]
	v_fma_f64 v[15:16], v[89:90], v[47:48], -v[21:22]
	v_add_f64 v[93:94], v[7:8], -v[57:58]
	v_add_f64 v[17:18], v[57:58], v[61:62]
	v_add_f64 v[19:20], v[7:8], v[65:66]
	v_add_f64 v[53:54], v[51:52], -v[69:70]
	v_add_f64 v[79:80], v[69:70], -v[51:52]
	v_fma_f64 v[21:22], v[87:88], v[47:48], v[37:38]
	v_add_f64 v[87:88], v[77:78], v[3:4]
	v_add_f64 v[95:96], v[65:66], -v[61:62]
	v_add_f64 v[97:98], v[57:58], -v[7:8]
	;; [unrolled: 1-line block ×5, first 2 shown]
	v_add_f64 v[37:38], v[69:70], v[5:6]
	v_add_f64 v[45:46], v[35:36], v[39:40]
	;; [unrolled: 1-line block ×4, first 2 shown]
	v_add_f64 v[73:74], v[49:50], -v[5:6]
	v_add_f64 v[81:82], v[5:6], -v[49:50]
	;; [unrolled: 1-line block ×3, first 2 shown]
	v_add_f64 v[59:60], v[9:10], v[11:12]
	v_add_f64 v[63:64], v[55:56], v[13:14]
	v_add_f64 v[67:68], v[9:10], -v[11:12]
	v_add_f64 v[71:72], v[55:56], -v[13:14]
	v_fma_f64 v[17:18], v[17:18], -0.5, v[15:16]
	v_fma_f64 v[19:20], v[19:20], -0.5, v[15:16]
	v_add_f64 v[7:8], v[15:16], v[7:8]
	v_add_f64 v[89:90], v[55:56], -v[9:10]
	v_add_f64 v[91:92], v[13:14], -v[11:12]
	;; [unrolled: 1-line block ×7, first 2 shown]
	v_add_f64 v[93:94], v[93:94], v[95:96]
	v_fma_f64 v[37:38], v[37:38], -0.5, v[75:76]
	v_fma_f64 v[45:46], v[45:46], -0.5, v[77:78]
	;; [unrolled: 1-line block ×4, first 2 shown]
	v_add_f64 v[53:54], v[53:54], v[73:74]
	v_add_f64 v[73:74], v[35:36], -v[39:40]
	v_add_f64 v[79:80], v[79:80], v[81:82]
	v_fma_f64 v[59:60], v[59:60], -0.5, v[21:22]
	v_fma_f64 v[63:64], v[63:64], -0.5, v[21:22]
	v_add_f64 v[21:22], v[21:22], v[55:56]
	v_add_f64 v[81:82], v[69:70], -v[5:6]
	v_fma_f64 v[75:76], v[71:72], s[0:1], v[17:18]
	v_fma_f64 v[77:78], v[67:68], s[16:17], v[19:20]
	;; [unrolled: 1-line block ×4, first 2 shown]
	v_add_f64 v[95:96], v[97:98], v[99:100]
	v_add_f64 v[69:70], v[85:86], v[69:70]
	v_add_f64 v[35:36], v[87:88], v[35:36]
	v_add_f64 v[7:8], v[7:8], v[57:58]
	v_add_f64 v[55:56], v[41:42], -v[39:40]
	v_fma_f64 v[85:86], v[51:52], s[0:1], v[45:46]
	v_fma_f64 v[45:46], v[51:52], s[16:17], v[45:46]
	;; [unrolled: 1-line block ×12, first 2 shown]
	v_add_f64 v[9:10], v[21:22], v[9:10]
	v_add_f64 v[71:72], v[39:40], -v[41:42]
	v_add_f64 v[67:68], v[89:90], v[91:92]
	v_add_f64 v[89:90], v[105:106], v[107:108]
	v_fma_f64 v[21:22], v[3:4], s[16:17], v[37:38]
	v_fma_f64 v[37:38], v[3:4], s[0:1], v[37:38]
	;; [unrolled: 1-line block ×4, first 2 shown]
	v_add_f64 v[5:6], v[69:70], v[5:6]
	v_add_f64 v[35:36], v[35:36], v[39:40]
	;; [unrolled: 1-line block ×4, first 2 shown]
	v_fma_f64 v[39:40], v[81:82], s[4:5], v[85:86]
	v_fma_f64 v[91:92], v[101:102], s[18:19], v[97:98]
	;; [unrolled: 1-line block ×9, first 2 shown]
	v_add_f64 v[9:10], v[9:10], v[11:12]
	v_add_f64 v[15:16], v[15:16], v[71:72]
	v_fma_f64 v[11:12], v[73:74], s[18:19], v[21:22]
	v_fma_f64 v[21:22], v[73:74], s[4:5], v[37:38]
	;; [unrolled: 1-line block ×7, first 2 shown]
	v_add_f64 v[49:50], v[5:6], v[49:50]
	v_add_f64 v[35:36], v[35:36], v[41:42]
	;; [unrolled: 1-line block ×3, first 2 shown]
	v_fma_f64 v[51:52], v[67:68], s[6:7], v[91:92]
	v_fma_f64 v[57:58], v[67:68], s[6:7], v[59:60]
	;; [unrolled: 1-line block ×4, first 2 shown]
	v_mul_f64 v[63:64], v[75:76], s[18:19]
	v_mul_f64 v[67:68], v[77:78], s[16:17]
	;; [unrolled: 1-line block ×8, first 2 shown]
	v_add_f64 v[13:14], v[9:10], v[13:14]
	v_fma_f64 v[10:11], v[53:54], s[6:7], v[11:12]
	v_fma_f64 v[65:66], v[79:80], s[6:7], v[37:38]
	;; [unrolled: 1-line block ×8, first 2 shown]
	v_add_f64 v[6:7], v[35:36], v[41:42]
	v_lshlrev_b64 v[8:9], 4, v[24:25]
	v_fma_f64 v[43:44], v[51:52], s[14:15], v[63:64]
	v_fma_f64 v[45:46], v[59:60], s[6:7], v[67:68]
	;; [unrolled: 1-line block ×8, first 2 shown]
	v_cmp_lt_u32_e64 s0, 5, v24
	v_add_f64 v[4:5], v[49:50], v[13:14]
	v_add_f64 v[12:13], v[49:50], -v[13:14]
	v_add_f64 v[14:15], v[35:36], -v[41:42]
	v_lshlrev_b64 v[69:70], 4, v[28:29]
	v_cndmask_b32_e64 v3, 0, 0x3c0, s0
	v_add_nc_u32_e32 v1, 0, v3
	v_add_f64 v[16:17], v[10:11], v[43:44]
	v_add_f64 v[20:21], v[65:66], v[45:46]
	;; [unrolled: 1-line block ×8, first 2 shown]
	v_add_f64 v[43:44], v[10:11], -v[43:44]
	v_add_f64 v[47:48], v[65:66], -v[45:46]
	;; [unrolled: 1-line block ×8, first 2 shown]
	v_add3_u32 v1, v1, v2, v34
	v_add_co_u32 v2, s0, s8, v8
	v_add_co_ci_u32_e64 v3, s0, s9, v9, s0
	v_add_co_u32 v10, s0, s8, v69
	v_add_co_ci_u32_e64 v11, s0, s9, v70, s0
	ds_write_b128 v1, v[4:7]
	ds_write_b128 v1, v[12:15] offset:480
	ds_write_b128 v1, v[16:19] offset:96
	;; [unrolled: 1-line block ×9, first 2 shown]
	s_waitcnt lgkmcnt(0)
	s_barrier
	buffer_gl0_inv
	s_clause 0x4
	global_load_dwordx4 v[4:7], v[2:3], off offset:864
	global_load_dwordx4 v[12:15], v[10:11], off offset:864
	;; [unrolled: 1-line block ×5, first 2 shown]
	ds_read_b128 v[38:41], v33 offset:960
	ds_read_b128 v[42:45], v33 offset:1152
	;; [unrolled: 1-line block ×5, first 2 shown]
	ds_read_b128 v[58:61], v0
	ds_read_b128 v[62:65], v30
	ds_read_b128 v[66:69], v33 offset:384
	v_cmp_ne_u32_e64 s0, 0, v24
	s_waitcnt vmcnt(4) lgkmcnt(7)
	v_mul_f64 v[70:71], v[40:41], v[6:7]
	v_mul_f64 v[6:7], v[38:39], v[6:7]
	s_waitcnt vmcnt(3) lgkmcnt(6)
	v_mul_f64 v[72:73], v[44:45], v[14:15]
	v_mul_f64 v[14:15], v[42:43], v[14:15]
	;; [unrolled: 3-line block ×5, first 2 shown]
	v_fma_f64 v[38:39], v[38:39], v[4:5], v[70:71]
	v_fma_f64 v[40:41], v[40:41], v[4:5], -v[6:7]
	v_fma_f64 v[42:43], v[42:43], v[12:13], v[72:73]
	v_fma_f64 v[44:45], v[44:45], v[12:13], -v[14:15]
	v_fma_f64 v[46:47], v[46:47], v[16:17], v[74:75]
	v_fma_f64 v[48:49], v[48:49], v[16:17], -v[18:19]
	v_fma_f64 v[50:51], v[50:51], v[20:21], v[76:77]
	v_fma_f64 v[52:53], v[52:53], v[20:21], -v[22:23]
	v_fma_f64 v[54:55], v[54:55], v[34:35], v[78:79]
	ds_read_b128 v[4:7], v33 offset:576
	ds_read_b128 v[12:15], v33 offset:768
	v_fma_f64 v[56:57], v[56:57], v[34:35], -v[36:37]
	s_waitcnt lgkmcnt(0)
	s_barrier
	buffer_gl0_inv
	v_add_f64 v[16:17], v[62:63], -v[38:39]
	v_add_f64 v[18:19], v[64:65], -v[40:41]
	v_add_f64 v[20:21], v[58:59], -v[42:43]
	v_add_f64 v[22:23], v[60:61], -v[44:45]
	v_add_f64 v[34:35], v[66:67], -v[46:47]
	v_add_f64 v[36:37], v[68:69], -v[48:49]
	v_add_f64 v[38:39], v[4:5], -v[50:51]
	v_add_f64 v[40:41], v[6:7], -v[52:53]
	v_add_f64 v[42:43], v[12:13], -v[54:55]
	v_add_f64 v[44:45], v[14:15], -v[56:57]
	v_fma_f64 v[46:47], v[62:63], 2.0, -v[16:17]
	v_fma_f64 v[48:49], v[64:65], 2.0, -v[18:19]
	;; [unrolled: 1-line block ×10, first 2 shown]
	ds_write_b128 v33, v[16:19] offset:960
	ds_write_b128 v33, v[46:49]
	ds_write_b128 v0, v[50:53]
	ds_write_b128 v0, v[20:23] offset:960
	ds_write_b128 v33, v[54:57] offset:384
	;; [unrolled: 1-line block ×7, first 2 shown]
	s_waitcnt lgkmcnt(0)
	s_barrier
	buffer_gl0_inv
	ds_read_b128 v[4:7], v30
	v_sub_nc_u32_e32 v16, v32, v31
                                        ; implicit-def: $vgpr0_vgpr1
                                        ; implicit-def: $vgpr12_vgpr13
                                        ; implicit-def: $vgpr14_vgpr15
	s_and_saveexec_b32 s1, s0
	s_xor_b32 s0, exec_lo, s1
	s_cbranch_execz .LBB0_16
; %bb.15:
	global_load_dwordx4 v[17:20], v[2:3], off offset:1824
	ds_read_b128 v[0:3], v16 offset:1920
	s_waitcnt lgkmcnt(0)
	v_add_f64 v[12:13], v[4:5], -v[0:1]
	v_add_f64 v[14:15], v[6:7], v[2:3]
	v_add_f64 v[2:3], v[6:7], -v[2:3]
	v_add_f64 v[0:1], v[4:5], v[0:1]
	v_mul_f64 v[6:7], v[12:13], 0.5
	v_mul_f64 v[4:5], v[14:15], 0.5
	;; [unrolled: 1-line block ×3, first 2 shown]
	s_waitcnt vmcnt(0)
	v_mul_f64 v[12:13], v[6:7], v[19:20]
	v_fma_f64 v[14:15], v[4:5], v[19:20], v[2:3]
	v_fma_f64 v[2:3], v[4:5], v[19:20], -v[2:3]
	v_fma_f64 v[21:22], v[0:1], 0.5, v[12:13]
	v_fma_f64 v[0:1], v[0:1], 0.5, -v[12:13]
	v_fma_f64 v[14:15], -v[17:18], v[6:7], v[14:15]
	v_fma_f64 v[2:3], -v[17:18], v[6:7], v[2:3]
	v_fma_f64 v[12:13], v[4:5], v[17:18], v[21:22]
	v_fma_f64 v[0:1], -v[4:5], v[17:18], v[0:1]
                                        ; implicit-def: $vgpr4_vgpr5
.LBB0_16:
	s_andn2_saveexec_b32 s0, s0
	s_cbranch_execz .LBB0_18
; %bb.17:
	ds_read_b64 v[17:18], v32 offset:968
	s_waitcnt lgkmcnt(1)
	v_add_f64 v[12:13], v[4:5], v[6:7]
	v_add_f64 v[0:1], v[4:5], -v[6:7]
	v_mov_b32_e32 v14, 0
	v_mov_b32_e32 v15, 0
	v_mov_b32_e32 v2, v14
	v_mov_b32_e32 v3, v15
	s_waitcnt lgkmcnt(0)
	v_xor_b32_e32 v18, 0x80000000, v18
	ds_write_b64 v32, v[17:18] offset:968
.LBB0_18:
	s_or_b32 exec_lo, exec_lo, s0
	s_waitcnt lgkmcnt(0)
	global_load_dwordx4 v[4:7], v[10:11], off offset:1824
	s_add_u32 s0, s8, 0x720
	s_addc_u32 s1, s9, 0
	v_add_co_u32 v21, s0, s0, v8
	v_add_co_ci_u32_e64 v22, s0, s1, v9, s0
	v_lshl_add_u32 v23, v28, 4, v32
	global_load_dwordx4 v[17:20], v[21:22], off offset:384
	ds_write2_b64 v30, v[12:13], v[14:15] offset1:1
	ds_write_b128 v16, v[0:3] offset:1920
	ds_read_b128 v[0:3], v23
	ds_read_b128 v[10:13], v16 offset:1728
	global_load_dwordx4 v[31:34], v[21:22], off offset:576
	s_waitcnt lgkmcnt(0)
	v_add_f64 v[14:15], v[0:1], -v[10:11]
	v_add_f64 v[28:29], v[2:3], v[12:13]
	v_add_f64 v[2:3], v[2:3], -v[12:13]
	v_add_f64 v[0:1], v[0:1], v[10:11]
	v_mul_f64 v[12:13], v[14:15], 0.5
	v_mul_f64 v[14:15], v[28:29], 0.5
	;; [unrolled: 1-line block ×3, first 2 shown]
	s_waitcnt vmcnt(2)
	v_mul_f64 v[10:11], v[12:13], v[6:7]
	v_fma_f64 v[28:29], v[14:15], v[6:7], v[2:3]
	v_fma_f64 v[2:3], v[14:15], v[6:7], -v[2:3]
	v_fma_f64 v[6:7], v[0:1], 0.5, v[10:11]
	v_fma_f64 v[0:1], v[0:1], 0.5, -v[10:11]
	v_fma_f64 v[10:11], -v[4:5], v[12:13], v[28:29]
	v_fma_f64 v[2:3], -v[4:5], v[12:13], v[2:3]
	v_fma_f64 v[6:7], v[14:15], v[4:5], v[6:7]
	v_fma_f64 v[0:1], -v[14:15], v[4:5], v[0:1]
	ds_write2_b64 v23, v[6:7], v[10:11] offset1:1
	ds_write_b128 v16, v[0:3] offset:1728
	ds_read_b128 v[0:3], v30 offset:384
	ds_read_b128 v[4:7], v16 offset:1536
	global_load_dwordx4 v[10:13], v[21:22], off offset:768
	s_waitcnt lgkmcnt(0)
	v_add_f64 v[14:15], v[0:1], -v[4:5]
	v_add_f64 v[21:22], v[2:3], v[6:7]
	v_add_f64 v[2:3], v[2:3], -v[6:7]
	v_add_f64 v[0:1], v[0:1], v[4:5]
	v_mul_f64 v[6:7], v[14:15], 0.5
	v_mul_f64 v[14:15], v[21:22], 0.5
	;; [unrolled: 1-line block ×3, first 2 shown]
	s_waitcnt vmcnt(2)
	v_mul_f64 v[4:5], v[6:7], v[19:20]
	v_fma_f64 v[21:22], v[14:15], v[19:20], v[2:3]
	v_fma_f64 v[2:3], v[14:15], v[19:20], -v[2:3]
	v_fma_f64 v[19:20], v[0:1], 0.5, v[4:5]
	v_fma_f64 v[0:1], v[0:1], 0.5, -v[4:5]
	v_fma_f64 v[4:5], -v[17:18], v[6:7], v[21:22]
	v_fma_f64 v[2:3], -v[17:18], v[6:7], v[2:3]
	v_fma_f64 v[6:7], v[14:15], v[17:18], v[19:20]
	v_fma_f64 v[0:1], -v[14:15], v[17:18], v[0:1]
	ds_write2_b64 v30, v[6:7], v[4:5] offset0:48 offset1:49
	ds_write_b128 v16, v[0:3] offset:1536
	ds_read_b128 v[0:3], v30 offset:576
	ds_read_b128 v[4:7], v16 offset:1344
	s_waitcnt lgkmcnt(0)
	v_add_f64 v[14:15], v[0:1], -v[4:5]
	v_add_f64 v[17:18], v[2:3], v[6:7]
	v_add_f64 v[2:3], v[2:3], -v[6:7]
	v_add_f64 v[0:1], v[0:1], v[4:5]
	v_mul_f64 v[6:7], v[14:15], 0.5
	v_mul_f64 v[14:15], v[17:18], 0.5
	;; [unrolled: 1-line block ×3, first 2 shown]
	s_waitcnt vmcnt(1)
	v_mul_f64 v[4:5], v[6:7], v[33:34]
	v_fma_f64 v[17:18], v[14:15], v[33:34], v[2:3]
	v_fma_f64 v[2:3], v[14:15], v[33:34], -v[2:3]
	v_fma_f64 v[19:20], v[0:1], 0.5, v[4:5]
	v_fma_f64 v[0:1], v[0:1], 0.5, -v[4:5]
	v_fma_f64 v[4:5], -v[31:32], v[6:7], v[17:18]
	v_fma_f64 v[2:3], -v[31:32], v[6:7], v[2:3]
	v_fma_f64 v[6:7], v[14:15], v[31:32], v[19:20]
	v_fma_f64 v[0:1], -v[14:15], v[31:32], v[0:1]
	ds_write2_b64 v30, v[6:7], v[4:5] offset0:72 offset1:73
	ds_write_b128 v16, v[0:3] offset:1344
	ds_read_b128 v[0:3], v30 offset:768
	ds_read_b128 v[4:7], v16 offset:1152
	s_waitcnt lgkmcnt(0)
	v_add_f64 v[14:15], v[0:1], -v[4:5]
	v_add_f64 v[17:18], v[2:3], v[6:7]
	v_add_f64 v[2:3], v[2:3], -v[6:7]
	v_add_f64 v[0:1], v[0:1], v[4:5]
	v_mul_f64 v[6:7], v[14:15], 0.5
	v_mul_f64 v[14:15], v[17:18], 0.5
	;; [unrolled: 1-line block ×3, first 2 shown]
	s_waitcnt vmcnt(0)
	v_mul_f64 v[4:5], v[6:7], v[12:13]
	v_fma_f64 v[17:18], v[14:15], v[12:13], v[2:3]
	v_fma_f64 v[2:3], v[14:15], v[12:13], -v[2:3]
	v_fma_f64 v[12:13], v[0:1], 0.5, v[4:5]
	v_fma_f64 v[0:1], v[0:1], 0.5, -v[4:5]
	v_fma_f64 v[4:5], -v[10:11], v[6:7], v[17:18]
	v_fma_f64 v[2:3], -v[10:11], v[6:7], v[2:3]
	v_fma_f64 v[6:7], v[14:15], v[10:11], v[12:13]
	v_fma_f64 v[0:1], -v[14:15], v[10:11], v[0:1]
	ds_write2_b64 v30, v[6:7], v[4:5] offset0:96 offset1:97
	ds_write_b128 v16, v[0:3] offset:1152
	s_waitcnt lgkmcnt(0)
	s_barrier
	buffer_gl0_inv
	s_and_saveexec_b32 s0, vcc_lo
	s_cbranch_execz .LBB0_21
; %bb.19:
	v_add_co_u32 v0, vcc_lo, s2, v26
	ds_read_b128 v[2:5], v30
	ds_read_b128 v[10:13], v30 offset:192
	ds_read_b128 v[14:17], v30 offset:384
	;; [unrolled: 1-line block ×5, first 2 shown]
	v_add_co_ci_u32_e32 v1, vcc_lo, s3, v27, vcc_lo
	ds_read_b128 v[25:28], v30 offset:1152
	ds_read_b128 v[39:42], v30 offset:1344
	;; [unrolled: 1-line block ×4, first 2 shown]
	v_add_co_u32 v6, vcc_lo, v0, v8
	v_add_co_ci_u32_e32 v7, vcc_lo, v1, v9, vcc_lo
	v_cmp_eq_u32_e32 vcc_lo, 11, v24
	s_waitcnt lgkmcnt(9)
	global_store_dwordx4 v[6:7], v[2:5], off
	s_waitcnt lgkmcnt(8)
	global_store_dwordx4 v[6:7], v[10:13], off offset:192
	s_waitcnt lgkmcnt(7)
	global_store_dwordx4 v[6:7], v[14:17], off offset:384
	;; [unrolled: 2-line block ×9, first 2 shown]
	s_and_b32 exec_lo, exec_lo, vcc_lo
	s_cbranch_execz .LBB0_21
; %bb.20:
	ds_read_b128 v[2:5], v30 offset:1744
	s_waitcnt lgkmcnt(0)
	global_store_dwordx4 v[0:1], v[2:5], off offset:1920
.LBB0_21:
	s_endpgm
	.section	.rodata,"a",@progbits
	.p2align	6, 0x0
	.amdhsa_kernel fft_rtc_back_len120_factors_6_10_2_wgs_60_tpt_12_halfLds_dp_ip_CI_unitstride_sbrr_R2C_dirReg
		.amdhsa_group_segment_fixed_size 0
		.amdhsa_private_segment_fixed_size 0
		.amdhsa_kernarg_size 88
		.amdhsa_user_sgpr_count 6
		.amdhsa_user_sgpr_private_segment_buffer 1
		.amdhsa_user_sgpr_dispatch_ptr 0
		.amdhsa_user_sgpr_queue_ptr 0
		.amdhsa_user_sgpr_kernarg_segment_ptr 1
		.amdhsa_user_sgpr_dispatch_id 0
		.amdhsa_user_sgpr_flat_scratch_init 0
		.amdhsa_user_sgpr_private_segment_size 0
		.amdhsa_wavefront_size32 1
		.amdhsa_uses_dynamic_stack 0
		.amdhsa_system_sgpr_private_segment_wavefront_offset 0
		.amdhsa_system_sgpr_workgroup_id_x 1
		.amdhsa_system_sgpr_workgroup_id_y 0
		.amdhsa_system_sgpr_workgroup_id_z 0
		.amdhsa_system_sgpr_workgroup_info 0
		.amdhsa_system_vgpr_workitem_id 0
		.amdhsa_next_free_vgpr 109
		.amdhsa_next_free_sgpr 21
		.amdhsa_reserve_vcc 1
		.amdhsa_reserve_flat_scratch 0
		.amdhsa_float_round_mode_32 0
		.amdhsa_float_round_mode_16_64 0
		.amdhsa_float_denorm_mode_32 3
		.amdhsa_float_denorm_mode_16_64 3
		.amdhsa_dx10_clamp 1
		.amdhsa_ieee_mode 1
		.amdhsa_fp16_overflow 0
		.amdhsa_workgroup_processor_mode 1
		.amdhsa_memory_ordered 1
		.amdhsa_forward_progress 0
		.amdhsa_shared_vgpr_count 0
		.amdhsa_exception_fp_ieee_invalid_op 0
		.amdhsa_exception_fp_denorm_src 0
		.amdhsa_exception_fp_ieee_div_zero 0
		.amdhsa_exception_fp_ieee_overflow 0
		.amdhsa_exception_fp_ieee_underflow 0
		.amdhsa_exception_fp_ieee_inexact 0
		.amdhsa_exception_int_div_zero 0
	.end_amdhsa_kernel
	.text
.Lfunc_end0:
	.size	fft_rtc_back_len120_factors_6_10_2_wgs_60_tpt_12_halfLds_dp_ip_CI_unitstride_sbrr_R2C_dirReg, .Lfunc_end0-fft_rtc_back_len120_factors_6_10_2_wgs_60_tpt_12_halfLds_dp_ip_CI_unitstride_sbrr_R2C_dirReg
                                        ; -- End function
	.section	.AMDGPU.csdata,"",@progbits
; Kernel info:
; codeLenInByte = 6484
; NumSgprs: 23
; NumVgprs: 109
; ScratchSize: 0
; MemoryBound: 0
; FloatMode: 240
; IeeeMode: 1
; LDSByteSize: 0 bytes/workgroup (compile time only)
; SGPRBlocks: 2
; VGPRBlocks: 13
; NumSGPRsForWavesPerEU: 23
; NumVGPRsForWavesPerEU: 109
; Occupancy: 9
; WaveLimiterHint : 1
; COMPUTE_PGM_RSRC2:SCRATCH_EN: 0
; COMPUTE_PGM_RSRC2:USER_SGPR: 6
; COMPUTE_PGM_RSRC2:TRAP_HANDLER: 0
; COMPUTE_PGM_RSRC2:TGID_X_EN: 1
; COMPUTE_PGM_RSRC2:TGID_Y_EN: 0
; COMPUTE_PGM_RSRC2:TGID_Z_EN: 0
; COMPUTE_PGM_RSRC2:TIDIG_COMP_CNT: 0
	.text
	.p2alignl 6, 3214868480
	.fill 48, 4, 3214868480
	.type	__hip_cuid_faadcfb47a5572f4,@object ; @__hip_cuid_faadcfb47a5572f4
	.section	.bss,"aw",@nobits
	.globl	__hip_cuid_faadcfb47a5572f4
__hip_cuid_faadcfb47a5572f4:
	.byte	0                               ; 0x0
	.size	__hip_cuid_faadcfb47a5572f4, 1

	.ident	"AMD clang version 19.0.0git (https://github.com/RadeonOpenCompute/llvm-project roc-6.4.0 25133 c7fe45cf4b819c5991fe208aaa96edf142730f1d)"
	.section	".note.GNU-stack","",@progbits
	.addrsig
	.addrsig_sym __hip_cuid_faadcfb47a5572f4
	.amdgpu_metadata
---
amdhsa.kernels:
  - .args:
      - .actual_access:  read_only
        .address_space:  global
        .offset:         0
        .size:           8
        .value_kind:     global_buffer
      - .offset:         8
        .size:           8
        .value_kind:     by_value
      - .actual_access:  read_only
        .address_space:  global
        .offset:         16
        .size:           8
        .value_kind:     global_buffer
      - .actual_access:  read_only
        .address_space:  global
        .offset:         24
        .size:           8
        .value_kind:     global_buffer
      - .offset:         32
        .size:           8
        .value_kind:     by_value
      - .actual_access:  read_only
        .address_space:  global
        .offset:         40
        .size:           8
        .value_kind:     global_buffer
      - .actual_access:  read_only
        .address_space:  global
        .offset:         48
        .size:           8
        .value_kind:     global_buffer
      - .offset:         56
        .size:           4
        .value_kind:     by_value
      - .actual_access:  read_only
        .address_space:  global
        .offset:         64
        .size:           8
        .value_kind:     global_buffer
      - .actual_access:  read_only
        .address_space:  global
        .offset:         72
        .size:           8
        .value_kind:     global_buffer
      - .address_space:  global
        .offset:         80
        .size:           8
        .value_kind:     global_buffer
    .group_segment_fixed_size: 0
    .kernarg_segment_align: 8
    .kernarg_segment_size: 88
    .language:       OpenCL C
    .language_version:
      - 2
      - 0
    .max_flat_workgroup_size: 60
    .name:           fft_rtc_back_len120_factors_6_10_2_wgs_60_tpt_12_halfLds_dp_ip_CI_unitstride_sbrr_R2C_dirReg
    .private_segment_fixed_size: 0
    .sgpr_count:     23
    .sgpr_spill_count: 0
    .symbol:         fft_rtc_back_len120_factors_6_10_2_wgs_60_tpt_12_halfLds_dp_ip_CI_unitstride_sbrr_R2C_dirReg.kd
    .uniform_work_group_size: 1
    .uses_dynamic_stack: false
    .vgpr_count:     109
    .vgpr_spill_count: 0
    .wavefront_size: 32
    .workgroup_processor_mode: 1
amdhsa.target:   amdgcn-amd-amdhsa--gfx1030
amdhsa.version:
  - 1
  - 2
...

	.end_amdgpu_metadata
